;; amdgpu-corpus repo=ROCm/rocFFT kind=compiled arch=gfx906 opt=O3
	.text
	.amdgcn_target "amdgcn-amd-amdhsa--gfx906"
	.amdhsa_code_object_version 6
	.protected	bluestein_single_fwd_len98_dim1_sp_op_CI_CI ; -- Begin function bluestein_single_fwd_len98_dim1_sp_op_CI_CI
	.globl	bluestein_single_fwd_len98_dim1_sp_op_CI_CI
	.p2align	8
	.type	bluestein_single_fwd_len98_dim1_sp_op_CI_CI,@function
bluestein_single_fwd_len98_dim1_sp_op_CI_CI: ; @bluestein_single_fwd_len98_dim1_sp_op_CI_CI
; %bb.0:
	v_mul_u32_u24_e32 v1, 0x124a, v0
	s_load_dwordx4 s[12:15], s[4:5], 0x28
	v_lshrrev_b32_e32 v1, 16, v1
	v_mad_u64_u32 v[48:49], s[0:1], s6, 18, v[1:2]
	v_mov_b32_e32 v49, 0
	s_waitcnt lgkmcnt(0)
	v_cmp_gt_u64_e32 vcc, s[12:13], v[48:49]
	s_and_saveexec_b64 s[0:1], vcc
	s_cbranch_execz .LBB0_15
; %bb.1:
	s_load_dwordx4 s[0:3], s[4:5], 0x18
	s_load_dwordx2 s[12:13], s[4:5], 0x0
	v_mul_lo_u16_e32 v1, 14, v1
	v_sub_u16_e32 v56, v0, v1
	v_lshlrev_b32_e32 v28, 3, v56
	s_waitcnt lgkmcnt(0)
	s_load_dwordx4 s[8:11], s[0:1], 0x0
	global_load_dwordx2 v[53:54], v28, s[12:13]
	global_load_dwordx2 v[51:52], v28, s[12:13] offset:392
	s_mov_b32 s6, 0x38e38e39
	v_mul_hi_u32 v14, v48, s6
	s_waitcnt lgkmcnt(0)
	v_mad_u64_u32 v[0:1], s[0:1], s10, v48, 0
	v_mad_u64_u32 v[2:3], s[0:1], s8, v56, 0
	v_lshrrev_b32_e32 v14, 2, v14
	v_mul_lo_u32 v14, v14, 18
	v_mad_u64_u32 v[4:5], s[0:1], s11, v48, v[1:2]
	v_mov_b32_e32 v15, s13
	v_sub_u32_e32 v14, v48, v14
	v_mad_u64_u32 v[5:6], s[0:1], s9, v56, v[3:4]
	v_mov_b32_e32 v1, v4
	v_lshlrev_b64 v[0:1], 3, v[0:1]
	v_mov_b32_e32 v6, s15
	v_mov_b32_e32 v3, v5
	v_add_co_u32_e32 v4, vcc, s14, v0
	v_addc_co_u32_e32 v5, vcc, v6, v1, vcc
	v_lshlrev_b64 v[0:1], 3, v[2:3]
	s_mul_i32 s0, s9, 49
	s_mul_hi_u32 s1, s8, 49
	s_add_i32 s1, s1, s0
	s_mul_i32 s0, s8, 49
	v_add_co_u32_e32 v0, vcc, v4, v0
	s_lshl_b64 s[14:15], s[0:1], 3
	s_mul_hi_u32 s1, s8, 0xffffffdd
	v_addc_co_u32_e32 v1, vcc, v5, v1, vcc
	s_mul_i32 s0, s9, 0xffffffdd
	s_sub_i32 s1, s1, s8
	global_load_dwordx2 v[2:3], v[0:1], off
	v_mov_b32_e32 v12, s15
	v_add_co_u32_e32 v0, vcc, s14, v0
	s_add_i32 s1, s1, s0
	s_mul_i32 s0, s8, 0xffffffdd
	v_addc_co_u32_e32 v1, vcc, v1, v12, vcc
	s_lshl_b64 s[0:1], s[0:1], 3
	v_mov_b32_e32 v10, s1
	v_add_co_u32_e32 v4, vcc, s0, v0
	v_addc_co_u32_e32 v5, vcc, v1, v10, vcc
	global_load_dwordx2 v[6:7], v[0:1], off
	global_load_dwordx2 v[8:9], v[4:5], off
	global_load_dwordx2 v[49:50], v28, s[12:13] offset:112
	v_add_co_u32_e32 v0, vcc, s14, v4
	v_addc_co_u32_e32 v1, vcc, v5, v12, vcc
	global_load_dwordx2 v[4:5], v[0:1], off
	global_load_dwordx2 v[46:47], v28, s[12:13] offset:504
	v_add_co_u32_e32 v0, vcc, s0, v0
	v_addc_co_u32_e32 v1, vcc, v1, v10, vcc
	;; [unrolled: 4-line block ×3, first 2 shown]
	global_load_dwordx2 v[42:43], v28, s[12:13] offset:616
	global_load_dwordx2 v[12:13], v[0:1], off
	v_add_co_u32_e32 v40, vcc, s12, v28
	v_mul_u32_u24_e32 v14, 0x62, v14
	v_addc_co_u32_e32 v41, vcc, 0, v15, vcc
	v_lshlrev_b32_e32 v16, 3, v14
	v_add_u32_e32 v55, v28, v16
	s_load_dwordx2 s[6:7], s[4:5], 0x38
	s_load_dwordx4 s[8:11], s[2:3], 0x0
	v_cmp_gt_u16_e32 vcc, 7, v56
	s_waitcnt vmcnt(9)
	v_mul_f32_e32 v14, v3, v54
	v_mul_f32_e32 v15, v2, v54
	v_fmac_f32_e32 v14, v2, v53
	v_fma_f32 v15, v3, v53, -v15
	s_waitcnt vmcnt(8)
	v_mul_f32_e32 v2, v7, v52
	v_mul_f32_e32 v3, v6, v52
	v_fmac_f32_e32 v2, v6, v51
	v_fma_f32 v3, v7, v51, -v3
	ds_write_b64 v55, v[2:3] offset:392
	s_waitcnt vmcnt(6)
	v_mul_f32_e32 v6, v9, v50
	v_mul_f32_e32 v7, v8, v50
	s_waitcnt vmcnt(4)
	v_mul_f32_e32 v2, v5, v47
	v_mul_f32_e32 v3, v4, v47
	v_fmac_f32_e32 v2, v4, v46
	v_fma_f32 v3, v5, v46, -v3
	v_fmac_f32_e32 v6, v8, v49
	s_waitcnt vmcnt(2)
	v_mul_f32_e32 v4, v11, v45
	v_mul_f32_e32 v5, v10, v45
	v_fma_f32 v7, v9, v49, -v7
	v_fmac_f32_e32 v4, v10, v44
	v_fma_f32 v5, v11, v44, -v5
	ds_write2_b64 v55, v[14:15], v[6:7] offset1:14
	ds_write_b64 v55, v[4:5] offset:224
	s_waitcnt vmcnt(0)
	v_mul_f32_e32 v4, v13, v43
	v_mul_f32_e32 v5, v12, v43
	v_fmac_f32_e32 v4, v12, v42
	v_fma_f32 v5, v13, v42, -v5
	ds_write2_b64 v55, v[2:3], v[4:5] offset0:63 offset1:77
	s_and_saveexec_b64 s[2:3], vcc
	s_cbranch_execz .LBB0_3
; %bb.2:
	v_mov_b32_e32 v2, s1
	v_add_co_u32_e64 v0, s[0:1], s0, v0
	v_addc_co_u32_e64 v1, s[0:1], v1, v2, s[0:1]
	global_load_dwordx2 v[2:3], v[0:1], off
	global_load_dwordx2 v[4:5], v[40:41], off offset:336
	v_mov_b32_e32 v6, s15
	v_add_co_u32_e64 v0, s[0:1], s14, v0
	v_addc_co_u32_e64 v1, s[0:1], v1, v6, s[0:1]
	global_load_dwordx2 v[6:7], v[40:41], off offset:728
	global_load_dwordx2 v[8:9], v[0:1], off
	s_waitcnt vmcnt(2)
	v_mul_f32_e32 v0, v3, v5
	v_mul_f32_e32 v1, v2, v5
	v_fmac_f32_e32 v0, v2, v4
	v_fma_f32 v1, v3, v4, -v1
	s_waitcnt vmcnt(0)
	v_mul_f32_e32 v2, v9, v7
	v_mul_f32_e32 v3, v8, v7
	v_fmac_f32_e32 v2, v8, v6
	v_fma_f32 v3, v9, v6, -v3
	ds_write2_b64 v55, v[0:1], v[2:3] offset0:42 offset1:91
.LBB0_3:
	s_or_b64 exec, exec, s[2:3]
	s_waitcnt lgkmcnt(0)
	s_barrier
	ds_read2_b64 v[8:11], v55 offset1:14
	ds_read2_b64 v[4:7], v55 offset0:28 offset1:49
	ds_read2_b64 v[12:15], v55 offset0:63 offset1:77
	s_load_dwordx2 s[2:3], s[4:5], 0x8
                                        ; implicit-def: $vgpr2
	s_and_saveexec_b64 s[0:1], vcc
	s_cbranch_execz .LBB0_5
; %bb.4:
	ds_read2_b64 v[0:3], v55 offset0:42 offset1:91
.LBB0_5:
	s_or_b64 exec, exec, s[0:1]
	s_waitcnt lgkmcnt(0)
	v_sub_f32_e32 v19, v8, v6
	v_sub_f32_e32 v20, v9, v7
	v_fma_f32 v17, v8, 2.0, -v19
	v_sub_f32_e32 v8, v10, v12
	v_sub_f32_e32 v12, v4, v14
	v_add_co_u32_e64 v21, s[0:1], 42, v56
	v_fma_f32 v18, v9, 2.0, -v20
	v_sub_f32_e32 v9, v11, v13
	v_fma_f32 v6, v10, 2.0, -v8
	v_fma_f32 v10, v4, 2.0, -v12
	v_lshlrev_b16_e32 v4, 1, v56
	v_fma_f32 v7, v11, 2.0, -v9
	v_sub_f32_e32 v13, v5, v15
	v_sub_f32_e32 v2, v0, v2
	;; [unrolled: 1-line block ×3, first 2 shown]
	v_lshl_add_u32 v58, v4, 3, v16
	v_lshl_add_u32 v59, v56, 4, v16
	;; [unrolled: 1-line block ×3, first 2 shown]
	v_fma_f32 v11, v5, 2.0, -v13
	s_barrier
	ds_write_b128 v58, v[17:20]
	ds_write_b128 v59, v[6:9] offset:224
	ds_write_b128 v59, v[10:13] offset:448
	s_and_saveexec_b64 s[0:1], vcc
	s_cbranch_execz .LBB0_7
; %bb.6:
	v_fma_f32 v1, v1, 2.0, -v3
	v_fma_f32 v0, v0, 2.0, -v2
	ds_write_b128 v57, v[0:3]
.LBB0_7:
	s_or_b64 exec, exec, s[0:1]
	v_and_b32_e32 v27, 1, v56
	v_mul_u32_u24_e32 v0, 6, v27
	v_lshlrev_b32_e32 v0, 3, v0
	s_waitcnt lgkmcnt(0)
	s_barrier
	global_load_dwordx4 v[12:15], v0, s[2:3]
	global_load_dwordx4 v[8:11], v0, s[2:3] offset:16
	global_load_dwordx4 v[4:7], v0, s[2:3] offset:32
	ds_read2_b64 v[17:20], v55 offset1:14
	ds_read2_b64 v[21:24], v55 offset0:28 offset1:42
	ds_read2_b64 v[29:32], v55 offset0:56 offset1:70
	ds_read_b64 v[0:1], v55 offset:672
	s_mov_b32 s1, 0x3f3bfb3b
	s_mov_b32 s4, 0xbf3bfb3b
	;; [unrolled: 1-line block ×4, first 2 shown]
	s_waitcnt vmcnt(0) lgkmcnt(0)
	s_barrier
	v_mul_f32_e32 v25, v20, v13
	v_mul_f32_e32 v26, v19, v13
	;; [unrolled: 1-line block ×12, first 2 shown]
	v_fma_f32 v19, v19, v12, -v25
	v_fmac_f32_e32 v26, v20, v12
	v_fma_f32 v20, v21, v14, -v33
	v_fma_f32 v21, v23, v8, -v35
	;; [unrolled: 1-line block ×4, first 2 shown]
	v_fmac_f32_e32 v34, v22, v14
	v_fmac_f32_e32 v36, v24, v8
	v_fma_f32 v22, v29, v10, -v37
	v_fmac_f32_e32 v38, v30, v10
	v_fmac_f32_e32 v60, v32, v4
	;; [unrolled: 1-line block ×3, first 2 shown]
	v_add_f32_e32 v1, v19, v0
	v_add_f32_e32 v25, v20, v23
	;; [unrolled: 1-line block ×3, first 2 shown]
	v_sub_f32_e32 v0, v19, v0
	v_sub_f32_e32 v19, v26, v62
	v_add_f32_e32 v26, v34, v60
	v_sub_f32_e32 v20, v20, v23
	v_sub_f32_e32 v23, v34, v60
	v_add_f32_e32 v29, v21, v22
	v_add_f32_e32 v30, v36, v38
	v_sub_f32_e32 v21, v22, v21
	v_sub_f32_e32 v22, v38, v36
	v_add_f32_e32 v31, v25, v1
	v_add_f32_e32 v32, v26, v24
	v_sub_f32_e32 v33, v25, v1
	v_sub_f32_e32 v34, v26, v24
	;; [unrolled: 1-line block ×6, first 2 shown]
	v_add_f32_e32 v35, v21, v20
	v_add_f32_e32 v36, v22, v23
	;; [unrolled: 1-line block ×3, first 2 shown]
	v_sub_f32_e32 v37, v21, v20
	v_sub_f32_e32 v38, v22, v23
	;; [unrolled: 1-line block ×6, first 2 shown]
	v_add_f32_e32 v30, v30, v32
	v_add_f32_e32 v31, v35, v0
	;; [unrolled: 1-line block ×3, first 2 shown]
	v_mul_f32_e32 v32, 0x3f4a47b2, v1
	v_mul_f32_e32 v24, 0x3f4a47b2, v24
	;; [unrolled: 1-line block ×4, first 2 shown]
	v_add_f32_e32 v0, v17, v29
	v_mul_f32_e32 v37, 0xbf08b237, v37
	v_mul_f32_e32 v39, 0x3f5ff5aa, v20
	v_add_f32_e32 v1, v18, v30
	v_fma_f32 v17, v33, s1, -v35
	v_fma_f32 v18, v34, s1, -v36
	;; [unrolled: 1-line block ×3, first 2 shown]
	v_fmac_f32_e32 v32, 0x3d64c772, v25
	v_fma_f32 v25, v34, s4, -v24
	v_mov_b32_e32 v34, v0
	v_fmac_f32_e32 v34, 0xbf955555, v29
	v_fmac_f32_e32 v24, 0x3d64c772, v26
	v_fma_f32 v26, v20, s0, -v37
	v_fmac_f32_e32 v37, 0x3eae86e6, v21
	v_fma_f32 v29, v21, s5, -v39
	v_mul_f32_e32 v38, 0xbf08b237, v38
	v_mov_b32_e32 v35, v1
	v_fmac_f32_e32 v37, 0x3ee1c552, v31
	v_fmac_f32_e32 v26, 0x3ee1c552, v31
	;; [unrolled: 1-line block ×3, first 2 shown]
	v_lshrrev_b32_e32 v31, 1, v56
	v_mul_f32_e32 v60, 0x3f5ff5aa, v23
	v_fmac_f32_e32 v35, 0xbf955555, v30
	v_fma_f32 v23, v23, s0, -v38
	v_fmac_f32_e32 v38, 0x3eae86e6, v22
	v_mul_u32_u24_e32 v31, 14, v31
	v_fma_f32 v30, v22, s5, -v60
	v_add_f32_e32 v32, v32, v34
	v_add_f32_e32 v36, v24, v35
	v_fmac_f32_e32 v38, 0x3ee1c552, v19
	v_or_b32_e32 v27, v31, v27
	v_add_f32_e32 v24, v17, v34
	v_add_f32_e32 v39, v18, v35
	;; [unrolled: 1-line block ×4, first 2 shown]
	v_fmac_f32_e32 v23, 0x3ee1c552, v19
	v_fmac_f32_e32 v30, 0x3ee1c552, v19
	v_add_f32_e32 v17, v38, v32
	v_sub_f32_e32 v18, v36, v37
	v_lshl_add_u32 v60, v27, 3, v16
	v_add_f32_e32 v19, v30, v33
	v_sub_f32_e32 v20, v34, v29
	v_sub_f32_e32 v21, v24, v23
	v_add_f32_e32 v22, v26, v39
	v_add_f32_e32 v23, v23, v24
	v_sub_f32_e32 v24, v39, v26
	v_sub_f32_e32 v25, v33, v30
	v_add_f32_e32 v26, v29, v34
	v_sub_f32_e32 v29, v32, v38
	v_add_f32_e32 v30, v37, v36
	ds_write2_b64 v60, v[0:1], v[17:18] offset1:2
	ds_write2_b64 v60, v[19:20], v[21:22] offset0:4 offset1:6
	ds_write2_b64 v60, v[23:24], v[25:26] offset0:8 offset1:10
	ds_write_b64 v60, v[29:30] offset:96
	v_mad_u64_u32 v[0:1], s[2:3], v56, 48, s[2:3]
	s_waitcnt lgkmcnt(0)
	s_barrier
	global_load_dwordx4 v[24:27], v[0:1], off offset:96
	global_load_dwordx4 v[20:23], v[0:1], off offset:112
	;; [unrolled: 1-line block ×3, first 2 shown]
	ds_read2_b64 v[29:32], v55 offset1:14
	ds_read2_b64 v[33:36], v55 offset0:28 offset1:42
	ds_read2_b64 v[61:64], v55 offset0:56 offset1:70
	ds_read_b64 v[0:1], v55 offset:672
	s_waitcnt vmcnt(2) lgkmcnt(3)
	v_mul_f32_e32 v37, v32, v25
	s_waitcnt lgkmcnt(2)
	v_mul_f32_e32 v38, v34, v27
	s_waitcnt vmcnt(1)
	v_mul_f32_e32 v66, v35, v21
	s_waitcnt vmcnt(0) lgkmcnt(1)
	v_mul_f32_e32 v69, v64, v17
	s_waitcnt lgkmcnt(0)
	v_mul_f32_e32 v72, v1, v19
	v_mul_f32_e32 v39, v33, v27
	;; [unrolled: 1-line block ×7, first 2 shown]
	v_fma_f32 v33, v33, v26, -v38
	v_fmac_f32_e32 v66, v36, v20
	v_fma_f32 v36, v63, v16, -v69
	v_fma_f32 v31, v31, v24, -v37
	;; [unrolled: 1-line block ×3, first 2 shown]
	v_mul_f32_e32 v68, v61, v23
	v_fmac_f32_e32 v39, v34, v26
	v_fma_f32 v34, v35, v20, -v65
	v_fma_f32 v35, v61, v22, -v67
	v_fmac_f32_e32 v70, v64, v16
	v_fmac_f32_e32 v71, v32, v24
	;; [unrolled: 1-line block ×3, first 2 shown]
	v_add_f32_e32 v1, v31, v0
	v_add_f32_e32 v32, v33, v36
	v_fmac_f32_e32 v68, v62, v22
	v_add_f32_e32 v37, v34, v35
	v_add_f32_e32 v38, v71, v73
	;; [unrolled: 1-line block ×7, first 2 shown]
	v_sub_f32_e32 v33, v33, v36
	v_sub_f32_e32 v36, v39, v70
	;; [unrolled: 1-line block ×4, first 2 shown]
	v_add_f32_e32 v64, v62, v64
	v_add_f32_e32 v29, v29, v63
	v_sub_f32_e32 v0, v31, v0
	v_sub_f32_e32 v31, v71, v73
	;; [unrolled: 1-line block ×8, first 2 shown]
	v_add_f32_e32 v61, v34, v33
	v_add_f32_e32 v62, v35, v36
	;; [unrolled: 1-line block ×3, first 2 shown]
	v_sub_f32_e32 v66, v34, v33
	v_sub_f32_e32 v34, v0, v34
	;; [unrolled: 1-line block ×3, first 2 shown]
	v_add_f32_e32 v0, v61, v0
	v_sub_f32_e32 v61, v35, v36
	v_sub_f32_e32 v35, v31, v35
	;; [unrolled: 1-line block ×3, first 2 shown]
	v_add_f32_e32 v31, v62, v31
	v_mov_b32_e32 v62, v29
	v_fmac_f32_e32 v62, 0xbf955555, v63
	v_mov_b32_e32 v63, v30
	v_mul_f32_e32 v1, 0x3f4a47b2, v1
	v_fmac_f32_e32 v63, 0xbf955555, v64
	v_mul_f32_e32 v64, 0x3d64c772, v32
	v_mul_f32_e32 v38, 0x3f4a47b2, v38
	v_fma_f32 v64, v39, s1, -v64
	v_fma_f32 v39, v39, s4, -v1
	v_fmac_f32_e32 v1, 0x3d64c772, v32
	v_mul_f32_e32 v32, 0x3d64c772, v37
	v_mul_f32_e32 v66, 0xbf08b237, v66
	;; [unrolled: 1-line block ×3, first 2 shown]
	v_fma_f32 v32, v65, s1, -v32
	v_fma_f32 v61, v65, s4, -v38
	v_fmac_f32_e32 v38, 0x3d64c772, v37
	v_mul_f32_e32 v37, 0x3f5ff5aa, v33
	v_fma_f32 v65, v33, s0, -v66
	v_fmac_f32_e32 v66, 0x3eae86e6, v34
	v_mul_f32_e32 v33, 0x3f5ff5aa, v36
	v_fma_f32 v36, v36, s0, -v67
	v_fmac_f32_e32 v67, 0x3eae86e6, v35
	v_fma_f32 v68, v34, s5, -v37
	v_fma_f32 v69, v35, s5, -v33
	v_add_f32_e32 v1, v1, v62
	v_add_f32_e32 v70, v38, v63
	;; [unrolled: 1-line block ×4, first 2 shown]
	v_fmac_f32_e32 v66, 0x3ee1c552, v0
	v_fmac_f32_e32 v67, 0x3ee1c552, v31
	v_fmac_f32_e32 v65, 0x3ee1c552, v0
	v_fmac_f32_e32 v36, 0x3ee1c552, v31
	v_add_f32_e32 v39, v39, v62
	v_add_f32_e32 v62, v61, v63
	v_fmac_f32_e32 v68, 0x3ee1c552, v0
	v_fmac_f32_e32 v69, 0x3ee1c552, v31
	v_add_f32_e32 v31, v67, v1
	v_sub_f32_e32 v32, v70, v66
	v_sub_f32_e32 v33, v35, v36
	v_add_f32_e32 v34, v65, v37
	v_add_f32_e32 v35, v36, v35
	v_sub_f32_e32 v36, v37, v65
	v_add_f32_e32 v37, v69, v39
	v_sub_f32_e32 v38, v62, v68
	v_sub_f32_e32 v61, v39, v69
	v_add_f32_e32 v62, v68, v62
	v_sub_f32_e32 v0, v1, v67
	v_add_f32_e32 v1, v66, v70
	ds_write2_b64 v55, v[29:30], v[31:32] offset1:14
	ds_write2_b64 v55, v[37:38], v[33:34] offset0:28 offset1:42
	ds_write2_b64 v55, v[35:36], v[61:62] offset0:56 offset1:70
	ds_write_b64 v55, v[0:1] offset:672
	s_waitcnt lgkmcnt(0)
	s_barrier
	global_load_dwordx2 v[33:34], v[40:41], off offset:784
	s_add_u32 s0, s12, 0x310
	s_addc_u32 s1, s13, 0
	global_load_dwordx2 v[37:38], v28, s[0:1] offset:112
	global_load_dwordx2 v[61:62], v28, s[0:1] offset:392
	;; [unrolled: 1-line block ×5, first 2 shown]
	ds_read2_b64 v[29:32], v55 offset1:14
	s_waitcnt vmcnt(5) lgkmcnt(0)
	v_mul_f32_e32 v35, v30, v34
	v_mul_f32_e32 v70, v29, v34
	v_fma_f32 v69, v29, v33, -v35
	v_fmac_f32_e32 v70, v30, v33
	s_waitcnt vmcnt(4)
	v_mul_f32_e32 v29, v32, v38
	v_mul_f32_e32 v30, v31, v38
	v_fma_f32 v29, v31, v37, -v29
	ds_read2_b64 v[33:36], v55 offset0:28 offset1:49
	v_fmac_f32_e32 v30, v32, v37
	ds_write2_b64 v55, v[69:70], v[29:30] offset1:14
	ds_read2_b64 v[29:32], v55 offset0:63 offset1:77
	s_waitcnt vmcnt(3) lgkmcnt(2)
	v_mul_f32_e32 v37, v36, v62
	v_mul_f32_e32 v38, v35, v62
	v_fma_f32 v37, v35, v61, -v37
	v_fmac_f32_e32 v38, v36, v61
	s_waitcnt vmcnt(2) lgkmcnt(0)
	v_mul_f32_e32 v35, v30, v64
	v_mul_f32_e32 v36, v29, v64
	v_fma_f32 v35, v29, v63, -v35
	v_fmac_f32_e32 v36, v30, v63
	s_waitcnt vmcnt(1)
	v_mul_f32_e32 v29, v34, v66
	v_mul_f32_e32 v30, v33, v66
	v_fma_f32 v29, v33, v65, -v29
	v_fmac_f32_e32 v30, v34, v65
	ds_write2_b64 v55, v[29:30], v[37:38] offset0:28 offset1:49
	s_waitcnt vmcnt(0)
	v_mul_f32_e32 v29, v32, v68
	v_mul_f32_e32 v30, v31, v68
	v_fma_f32 v29, v31, v67, -v29
	v_fmac_f32_e32 v30, v32, v67
	ds_write2_b64 v55, v[35:36], v[29:30] offset0:63 offset1:77
	s_and_saveexec_b64 s[2:3], vcc
	s_cbranch_execz .LBB0_9
; %bb.8:
	v_mov_b32_e32 v29, s1
	v_add_co_u32_e64 v28, s[0:1], s0, v28
	v_addc_co_u32_e64 v29, s[0:1], 0, v29, s[0:1]
	global_load_dwordx2 v[32:33], v[28:29], off offset:336
	global_load_dwordx2 v[34:35], v[28:29], off offset:728
	ds_read2_b64 v[28:31], v55 offset0:42 offset1:91
	s_waitcnt vmcnt(1) lgkmcnt(0)
	v_mul_f32_e32 v37, v29, v33
	v_mul_f32_e32 v36, v28, v33
	s_waitcnt vmcnt(0)
	v_mul_f32_e32 v38, v31, v35
	v_mul_f32_e32 v33, v30, v35
	v_fma_f32 v35, v28, v32, -v37
	v_fmac_f32_e32 v36, v29, v32
	v_fma_f32 v32, v30, v34, -v38
	v_fmac_f32_e32 v33, v31, v34
	ds_write2_b64 v55, v[35:36], v[32:33] offset0:42 offset1:91
.LBB0_9:
	s_or_b64 exec, exec, s[2:3]
	s_waitcnt lgkmcnt(0)
	s_barrier
	ds_read2_b64 v[32:35], v55 offset1:14
	ds_read2_b64 v[28:31], v55 offset0:28 offset1:49
	ds_read2_b64 v[36:39], v55 offset0:63 offset1:77
	v_add_u32_e32 v61, 0xe0, v59
	v_add_u32_e32 v59, 0x1c0, v59
	s_and_saveexec_b64 s[0:1], vcc
	s_cbranch_execz .LBB0_11
; %bb.10:
	ds_read2_b64 v[0:3], v55 offset0:42 offset1:91
.LBB0_11:
	s_or_b64 exec, exec, s[0:1]
	s_waitcnt lgkmcnt(1)
	v_sub_f32_e32 v64, v32, v30
	v_sub_f32_e32 v65, v33, v31
	v_fma_f32 v62, v32, 2.0, -v64
	v_fma_f32 v63, v33, 2.0, -v65
	s_waitcnt lgkmcnt(0)
	v_sub_f32_e32 v32, v34, v36
	v_sub_f32_e32 v33, v35, v37
	;; [unrolled: 1-line block ×4, first 2 shown]
	v_fma_f32 v30, v34, 2.0, -v32
	v_fma_f32 v31, v35, 2.0, -v33
	;; [unrolled: 1-line block ×4, first 2 shown]
	s_barrier
	ds_write_b128 v58, v[62:65]
	ds_write_b128 v61, v[30:33]
	;; [unrolled: 1-line block ×3, first 2 shown]
	s_and_saveexec_b64 s[0:1], vcc
	s_cbranch_execz .LBB0_13
; %bb.12:
	v_sub_f32_e32 v3, v1, v3
	v_sub_f32_e32 v2, v0, v2
	v_fma_f32 v1, v1, 2.0, -v3
	v_fma_f32 v0, v0, 2.0, -v2
	ds_write_b128 v57, v[0:3]
.LBB0_13:
	s_or_b64 exec, exec, s[0:1]
	s_waitcnt lgkmcnt(0)
	s_barrier
	ds_read2_b64 v[0:3], v55 offset1:14
	ds_read2_b64 v[28:31], v55 offset0:28 offset1:42
	ds_read2_b64 v[32:35], v55 offset0:56 offset1:70
	ds_read_b64 v[36:37], v55 offset:672
	s_mov_b32 s2, 0xbf5ff5aa
	s_waitcnt lgkmcnt(3)
	v_mul_f32_e32 v38, v13, v3
	v_fmac_f32_e32 v38, v12, v2
	v_mul_f32_e32 v2, v13, v2
	s_waitcnt lgkmcnt(2)
	v_mul_f32_e32 v13, v9, v31
	v_mul_f32_e32 v9, v9, v30
	v_fmac_f32_e32 v13, v8, v30
	v_fma_f32 v8, v8, v31, -v9
	s_waitcnt lgkmcnt(1)
	v_mul_f32_e32 v9, v11, v33
	v_mul_f32_e32 v11, v11, v32
	v_fmac_f32_e32 v9, v10, v32
	v_fma_f32 v10, v10, v33, -v11
	v_mul_f32_e32 v11, v5, v35
	v_mul_f32_e32 v5, v5, v34
	v_fma_f32 v2, v12, v3, -v2
	v_mul_f32_e32 v3, v15, v29
	v_fmac_f32_e32 v11, v4, v34
	v_fma_f32 v4, v4, v35, -v5
	s_waitcnt lgkmcnt(0)
	v_mul_f32_e32 v5, v7, v37
	v_mul_f32_e32 v7, v7, v36
	v_fmac_f32_e32 v3, v14, v28
	v_mul_f32_e32 v12, v15, v28
	v_fmac_f32_e32 v5, v6, v36
	v_fma_f32 v6, v6, v37, -v7
	v_fma_f32 v12, v14, v29, -v12
	v_add_f32_e32 v7, v38, v5
	v_add_f32_e32 v14, v2, v6
	v_sub_f32_e32 v2, v2, v6
	v_add_f32_e32 v6, v3, v11
	v_add_f32_e32 v15, v12, v4
	v_sub_f32_e32 v3, v3, v11
	v_sub_f32_e32 v4, v12, v4
	v_add_f32_e32 v11, v13, v9
	v_add_f32_e32 v12, v8, v10
	v_sub_f32_e32 v8, v10, v8
	v_add_f32_e32 v10, v6, v7
	v_sub_f32_e32 v9, v9, v13
	v_add_f32_e32 v13, v15, v14
	v_add_f32_e32 v10, v11, v10
	v_sub_f32_e32 v28, v6, v7
	v_sub_f32_e32 v7, v7, v11
	;; [unrolled: 1-line block ×3, first 2 shown]
	v_add_f32_e32 v11, v12, v13
	v_add_f32_e32 v0, v0, v10
	v_sub_f32_e32 v5, v38, v5
	v_sub_f32_e32 v29, v15, v14
	;; [unrolled: 1-line block ×4, first 2 shown]
	v_add_f32_e32 v30, v9, v3
	v_add_f32_e32 v31, v8, v4
	v_sub_f32_e32 v32, v9, v3
	v_sub_f32_e32 v33, v8, v4
	v_add_f32_e32 v1, v1, v11
	v_mov_b32_e32 v34, v0
	v_sub_f32_e32 v9, v5, v9
	v_sub_f32_e32 v8, v2, v8
	;; [unrolled: 1-line block ×4, first 2 shown]
	v_add_f32_e32 v5, v30, v5
	v_add_f32_e32 v2, v31, v2
	v_mul_f32_e32 v7, 0x3f4a47b2, v7
	v_mul_f32_e32 v12, 0x3f4a47b2, v14
	;; [unrolled: 1-line block ×6, first 2 shown]
	v_fmac_f32_e32 v34, 0xbf955555, v10
	v_mov_b32_e32 v10, v1
	s_mov_b32 s3, 0x3f3bfb3b
	v_mul_f32_e32 v32, 0xbf5ff5aa, v3
	v_mul_f32_e32 v33, 0xbf5ff5aa, v4
	v_fmac_f32_e32 v10, 0xbf955555, v11
	v_fma_f32 v11, v28, s3, -v13
	v_fma_f32 v13, v29, s3, -v14
	v_fma_f32 v14, v28, s4, -v7
	v_fmac_f32_e32 v7, 0x3d64c772, v6
	v_fma_f32 v6, v29, s4, -v12
	v_fmac_f32_e32 v12, 0x3d64c772, v15
	v_fma_f32 v15, v3, s2, -v30
	;; [unrolled: 2-line block ×3, first 2 shown]
	v_fmac_f32_e32 v31, 0xbeae86e6, v8
	s_mov_b32 s5, 0x3eae86e6
	v_fma_f32 v29, v9, s5, -v32
	v_fma_f32 v32, v8, s5, -v33
	v_add_f32_e32 v33, v7, v34
	v_add_f32_e32 v35, v12, v10
	v_fmac_f32_e32 v30, 0xbee1c552, v5
	v_fmac_f32_e32 v31, 0xbee1c552, v2
	v_add_f32_e32 v8, v11, v34
	v_add_f32_e32 v9, v13, v10
	;; [unrolled: 1-line block ×4, first 2 shown]
	v_fmac_f32_e32 v15, 0xbee1c552, v5
	v_fmac_f32_e32 v28, 0xbee1c552, v2
	v_fmac_f32_e32 v29, 0xbee1c552, v5
	v_fmac_f32_e32 v32, 0xbee1c552, v2
	v_add_f32_e32 v2, v31, v33
	v_sub_f32_e32 v3, v35, v30
	v_add_f32_e32 v4, v32, v11
	v_sub_f32_e32 v5, v12, v29
	v_sub_f32_e32 v6, v8, v28
	v_add_f32_e32 v7, v15, v9
	v_add_f32_e32 v8, v28, v8
	v_sub_f32_e32 v9, v9, v15
	v_sub_f32_e32 v10, v11, v32
	v_add_f32_e32 v11, v29, v12
	v_sub_f32_e32 v12, v33, v31
	v_add_f32_e32 v13, v30, v35
	s_barrier
	ds_write2_b64 v60, v[0:1], v[2:3] offset1:2
	ds_write2_b64 v60, v[4:5], v[6:7] offset0:4 offset1:6
	ds_write2_b64 v60, v[8:9], v[10:11] offset0:8 offset1:10
	ds_write_b64 v60, v[12:13] offset:96
	s_waitcnt lgkmcnt(0)
	s_barrier
	ds_read2_b64 v[0:3], v55 offset1:14
	ds_read2_b64 v[4:7], v55 offset0:28 offset1:42
	ds_read2_b64 v[8:11], v55 offset0:56 offset1:70
	ds_read_b64 v[14:15], v55 offset:672
	v_mad_u64_u32 v[12:13], s[0:1], s10, v48, 0
	s_waitcnt lgkmcnt(3)
	v_mul_f32_e32 v28, v25, v3
	v_fmac_f32_e32 v28, v24, v2
	v_mul_f32_e32 v2, v25, v2
	v_fma_f32 v2, v24, v3, -v2
	s_waitcnt lgkmcnt(2)
	v_mul_f32_e32 v3, v27, v5
	v_fmac_f32_e32 v3, v26, v4
	v_mul_f32_e32 v4, v27, v4
	v_fma_f32 v4, v26, v5, -v4
	v_mul_f32_e32 v5, v21, v7
	v_fmac_f32_e32 v5, v20, v6
	v_mul_f32_e32 v6, v21, v6
	v_fma_f32 v6, v20, v7, -v6
	s_waitcnt lgkmcnt(1)
	v_mul_f32_e32 v7, v23, v9
	v_fmac_f32_e32 v7, v22, v8
	v_mul_f32_e32 v8, v23, v8
	v_fma_f32 v8, v22, v9, -v8
	;; [unrolled: 9-line block ×3, first 2 shown]
	v_add_f32_e32 v15, v28, v11
	v_add_f32_e32 v16, v2, v14
	v_sub_f32_e32 v2, v2, v14
	v_add_f32_e32 v14, v3, v9
	v_add_f32_e32 v17, v4, v10
	v_sub_f32_e32 v3, v3, v9
	v_add_f32_e32 v9, v5, v7
	v_sub_f32_e32 v5, v7, v5
	;; [unrolled: 2-line block ×4, first 2 shown]
	v_add_f32_e32 v8, v17, v16
	v_add_f32_e32 v7, v9, v7
	;; [unrolled: 1-line block ×4, first 2 shown]
	v_sub_f32_e32 v11, v28, v11
	v_sub_f32_e32 v18, v14, v15
	;; [unrolled: 1-line block ×7, first 2 shown]
	v_add_f32_e32 v20, v5, v3
	v_add_f32_e32 v21, v6, v4
	v_sub_f32_e32 v22, v5, v3
	v_sub_f32_e32 v23, v6, v4
	v_add_f32_e32 v1, v1, v8
	v_mov_b32_e32 v24, v0
	v_sub_f32_e32 v5, v11, v5
	v_sub_f32_e32 v6, v2, v6
	;; [unrolled: 1-line block ×4, first 2 shown]
	v_add_f32_e32 v9, v20, v11
	v_add_f32_e32 v2, v21, v2
	v_mul_f32_e32 v10, 0x3f4a47b2, v15
	v_mul_f32_e32 v11, 0x3f4a47b2, v16
	;; [unrolled: 1-line block ×6, first 2 shown]
	v_fmac_f32_e32 v24, 0xbf955555, v7
	v_mov_b32_e32 v7, v1
	v_mul_f32_e32 v22, 0xbf5ff5aa, v3
	v_mul_f32_e32 v23, 0xbf5ff5aa, v4
	v_fmac_f32_e32 v7, 0xbf955555, v8
	v_fma_f32 v8, v18, s3, -v15
	v_fma_f32 v15, v19, s3, -v16
	;; [unrolled: 1-line block ×3, first 2 shown]
	v_fmac_f32_e32 v10, 0x3d64c772, v14
	v_fma_f32 v14, v19, s4, -v11
	v_fmac_f32_e32 v11, 0x3d64c772, v17
	v_fma_f32 v17, v3, s2, -v20
	;; [unrolled: 2-line block ×4, first 2 shown]
	v_fma_f32 v22, v6, s5, -v23
	v_add_f32_e32 v23, v10, v24
	v_add_f32_e32 v25, v11, v7
	v_fmac_f32_e32 v20, 0xbee1c552, v9
	v_fmac_f32_e32 v21, 0xbee1c552, v2
	v_add_f32_e32 v8, v8, v24
	v_add_f32_e32 v10, v15, v7
	;; [unrolled: 1-line block ×4, first 2 shown]
	v_fmac_f32_e32 v17, 0xbee1c552, v9
	v_fmac_f32_e32 v18, 0xbee1c552, v2
	;; [unrolled: 1-line block ×4, first 2 shown]
	v_add_f32_e32 v2, v21, v23
	v_sub_f32_e32 v3, v25, v20
	v_add_f32_e32 v4, v22, v11
	v_sub_f32_e32 v5, v14, v19
	v_sub_f32_e32 v6, v8, v18
	v_add_f32_e32 v7, v17, v10
	v_add_f32_e32 v8, v18, v8
	v_sub_f32_e32 v9, v10, v17
	v_sub_f32_e32 v10, v11, v22
	v_add_f32_e32 v11, v19, v14
	v_sub_f32_e32 v14, v23, v21
	v_add_f32_e32 v15, v20, v25
	ds_write2_b64 v55, v[0:1], v[2:3] offset1:14
	ds_write2_b64 v55, v[4:5], v[6:7] offset0:28 offset1:42
	ds_write2_b64 v55, v[8:9], v[10:11] offset0:56 offset1:70
	ds_write_b64 v55, v[14:15] offset:672
	s_waitcnt lgkmcnt(0)
	s_barrier
	ds_read2_b64 v[0:3], v55 offset1:14
	v_mov_b32_e32 v4, v13
	v_mad_u64_u32 v[4:5], s[0:1], s11, v48, v[4:5]
	s_mov_b32 s2, 0xa72f0539
	s_waitcnt lgkmcnt(0)
	v_mul_f32_e32 v5, v54, v1
	v_fmac_f32_e32 v5, v53, v0
	v_cvt_f64_f32_e32 v[5:6], v5
	s_mov_b32 s3, 0x3f84e5e0
	v_mul_f32_e32 v0, v54, v0
	v_fma_f32 v0, v53, v1, -v0
	v_mul_f64 v[5:6], v[5:6], s[2:3]
	v_cvt_f64_f32_e32 v[0:1], v0
	v_mad_u64_u32 v[8:9], s[0:1], s8, v56, 0
	v_mov_b32_e32 v13, v4
	v_mul_f64 v[0:1], v[0:1], s[2:3]
	v_mov_b32_e32 v4, v9
	v_mov_b32_e32 v14, s7
	v_mad_u64_u32 v[9:10], s[0:1], s9, v56, v[4:5]
	v_cvt_f32_f64_e32 v10, v[5:6]
	ds_read2_b64 v[4:7], v55 offset0:28 offset1:49
	v_lshlrev_b64 v[8:9], 3, v[8:9]
	v_cvt_f32_f64_e32 v11, v[0:1]
	v_lshlrev_b64 v[0:1], 3, v[12:13]
	s_waitcnt lgkmcnt(0)
	v_mul_f32_e32 v12, v52, v7
	v_fmac_f32_e32 v12, v51, v6
	v_mul_f32_e32 v6, v52, v6
	v_fma_f32 v6, v51, v7, -v6
	v_cvt_f64_f32_e32 v[12:13], v12
	v_cvt_f64_f32_e32 v[6:7], v6
	v_add_co_u32_e64 v15, s[0:1], s6, v0
	v_addc_co_u32_e64 v14, s[0:1], v14, v1, s[0:1]
	v_mul_f64 v[0:1], v[12:13], s[2:3]
	v_mul_f64 v[6:7], v[6:7], s[2:3]
	v_add_co_u32_e64 v8, s[0:1], v15, v8
	v_addc_co_u32_e64 v9, s[0:1], v14, v9, s[0:1]
	s_mul_i32 s0, s9, 49
	s_mul_hi_u32 s1, s8, 49
	v_cvt_f32_f64_e32 v0, v[0:1]
	v_cvt_f32_f64_e32 v1, v[6:7]
	v_mul_f32_e32 v6, v50, v3
	v_fmac_f32_e32 v6, v49, v2
	v_mul_f32_e32 v2, v50, v2
	v_fma_f32 v2, v49, v3, -v2
	v_cvt_f64_f32_e32 v[6:7], v6
	v_cvt_f64_f32_e32 v[2:3], v2
	s_add_i32 s1, s1, s0
	s_mul_i32 s0, s8, 49
	v_mul_f64 v[6:7], v[6:7], s[2:3]
	v_mul_f64 v[2:3], v[2:3], s[2:3]
	s_lshl_b64 s[4:5], s[0:1], 3
	global_store_dwordx2 v[8:9], v[10:11], off
	v_mov_b32_e32 v12, s5
	v_add_co_u32_e64 v8, s[0:1], s4, v8
	v_addc_co_u32_e64 v9, s[0:1], v9, v12, s[0:1]
	global_store_dwordx2 v[8:9], v[0:1], off
	v_cvt_f32_f64_e32 v6, v[6:7]
	v_cvt_f32_f64_e32 v7, v[2:3]
	ds_read2_b64 v[0:3], v55 offset0:63 offset1:77
	s_mul_hi_u32 s1, s8, 0xffffffdd
	s_mul_i32 s0, s9, 0xffffffdd
	s_sub_i32 s1, s1, s8
	s_add_i32 s1, s1, s0
	s_waitcnt lgkmcnt(0)
	v_mul_f32_e32 v10, v47, v1
	v_fmac_f32_e32 v10, v46, v0
	v_mul_f32_e32 v0, v47, v0
	v_fma_f32 v0, v46, v1, -v0
	v_cvt_f64_f32_e32 v[0:1], v0
	v_cvt_f64_f32_e32 v[10:11], v10
	s_mul_i32 s0, s8, 0xffffffdd
	s_lshl_b64 s[6:7], s[0:1], 3
	v_mul_f64 v[0:1], v[0:1], s[2:3]
	v_mul_f64 v[10:11], v[10:11], s[2:3]
	v_mov_b32_e32 v13, s7
	v_add_co_u32_e64 v8, s[0:1], s6, v8
	v_addc_co_u32_e64 v9, s[0:1], v9, v13, s[0:1]
	global_store_dwordx2 v[8:9], v[6:7], off
	v_cvt_f32_f64_e32 v7, v[0:1]
	v_mul_f32_e32 v0, v45, v5
	v_fmac_f32_e32 v0, v44, v4
	v_mul_f32_e32 v4, v45, v4
	v_cvt_f32_f64_e32 v6, v[10:11]
	v_fma_f32 v4, v44, v5, -v4
	v_mul_f32_e32 v10, v43, v3
	v_cvt_f64_f32_e32 v[0:1], v0
	v_cvt_f64_f32_e32 v[4:5], v4
	v_fmac_f32_e32 v10, v42, v2
	v_mul_f32_e32 v2, v43, v2
	v_fma_f32 v2, v42, v3, -v2
	v_cvt_f64_f32_e32 v[10:11], v10
	v_cvt_f64_f32_e32 v[2:3], v2
	v_add_co_u32_e64 v8, s[0:1], s4, v8
	v_mul_f64 v[0:1], v[0:1], s[2:3]
	v_mul_f64 v[4:5], v[4:5], s[2:3]
	v_addc_co_u32_e64 v9, s[0:1], v9, v12, s[0:1]
	global_store_dwordx2 v[8:9], v[6:7], off
	v_mul_f64 v[6:7], v[10:11], s[2:3]
	v_mul_f64 v[2:3], v[2:3], s[2:3]
	v_cvt_f32_f64_e32 v0, v[0:1]
	v_cvt_f32_f64_e32 v1, v[4:5]
	v_add_co_u32_e64 v4, s[0:1], s6, v8
	v_addc_co_u32_e64 v5, s[0:1], v9, v13, s[0:1]
	v_cvt_f32_f64_e32 v6, v[6:7]
	v_cvt_f32_f64_e32 v7, v[2:3]
	global_store_dwordx2 v[4:5], v[0:1], off
	v_add_co_u32_e64 v0, s[0:1], s4, v4
	v_addc_co_u32_e64 v1, s[0:1], v5, v12, s[0:1]
	global_store_dwordx2 v[0:1], v[6:7], off
	s_and_b64 exec, exec, vcc
	s_cbranch_execz .LBB0_15
; %bb.14:
	global_load_dwordx2 v[6:7], v[40:41], off offset:336
	global_load_dwordx2 v[8:9], v[40:41], off offset:728
	ds_read2_b64 v[2:5], v55 offset0:42 offset1:91
	v_mov_b32_e32 v10, s7
	v_add_co_u32_e32 v0, vcc, s6, v0
	v_addc_co_u32_e32 v1, vcc, v1, v10, vcc
	v_mov_b32_e32 v11, s5
	s_waitcnt vmcnt(1) lgkmcnt(0)
	v_mul_f32_e32 v12, v3, v7
	v_mul_f32_e32 v7, v2, v7
	s_waitcnt vmcnt(0)
	v_mul_f32_e32 v13, v5, v9
	v_mul_f32_e32 v9, v4, v9
	v_fmac_f32_e32 v12, v2, v6
	v_fma_f32 v6, v6, v3, -v7
	v_fmac_f32_e32 v13, v4, v8
	v_fma_f32 v8, v8, v5, -v9
	v_cvt_f64_f32_e32 v[2:3], v12
	v_cvt_f64_f32_e32 v[4:5], v6
	;; [unrolled: 1-line block ×4, first 2 shown]
	v_mul_f64 v[2:3], v[2:3], s[2:3]
	v_mul_f64 v[4:5], v[4:5], s[2:3]
	;; [unrolled: 1-line block ×4, first 2 shown]
	v_cvt_f32_f64_e32 v2, v[2:3]
	v_cvt_f32_f64_e32 v3, v[4:5]
	v_cvt_f32_f64_e32 v4, v[6:7]
	v_cvt_f32_f64_e32 v5, v[8:9]
	v_add_co_u32_e32 v6, vcc, s4, v0
	v_addc_co_u32_e32 v7, vcc, v1, v11, vcc
	global_store_dwordx2 v[0:1], v[2:3], off
	global_store_dwordx2 v[6:7], v[4:5], off
.LBB0_15:
	s_endpgm
	.section	.rodata,"a",@progbits
	.p2align	6, 0x0
	.amdhsa_kernel bluestein_single_fwd_len98_dim1_sp_op_CI_CI
		.amdhsa_group_segment_fixed_size 14112
		.amdhsa_private_segment_fixed_size 0
		.amdhsa_kernarg_size 104
		.amdhsa_user_sgpr_count 6
		.amdhsa_user_sgpr_private_segment_buffer 1
		.amdhsa_user_sgpr_dispatch_ptr 0
		.amdhsa_user_sgpr_queue_ptr 0
		.amdhsa_user_sgpr_kernarg_segment_ptr 1
		.amdhsa_user_sgpr_dispatch_id 0
		.amdhsa_user_sgpr_flat_scratch_init 0
		.amdhsa_user_sgpr_private_segment_size 0
		.amdhsa_uses_dynamic_stack 0
		.amdhsa_system_sgpr_private_segment_wavefront_offset 0
		.amdhsa_system_sgpr_workgroup_id_x 1
		.amdhsa_system_sgpr_workgroup_id_y 0
		.amdhsa_system_sgpr_workgroup_id_z 0
		.amdhsa_system_sgpr_workgroup_info 0
		.amdhsa_system_vgpr_workitem_id 0
		.amdhsa_next_free_vgpr 74
		.amdhsa_next_free_sgpr 16
		.amdhsa_reserve_vcc 1
		.amdhsa_reserve_flat_scratch 0
		.amdhsa_float_round_mode_32 0
		.amdhsa_float_round_mode_16_64 0
		.amdhsa_float_denorm_mode_32 3
		.amdhsa_float_denorm_mode_16_64 3
		.amdhsa_dx10_clamp 1
		.amdhsa_ieee_mode 1
		.amdhsa_fp16_overflow 0
		.amdhsa_exception_fp_ieee_invalid_op 0
		.amdhsa_exception_fp_denorm_src 0
		.amdhsa_exception_fp_ieee_div_zero 0
		.amdhsa_exception_fp_ieee_overflow 0
		.amdhsa_exception_fp_ieee_underflow 0
		.amdhsa_exception_fp_ieee_inexact 0
		.amdhsa_exception_int_div_zero 0
	.end_amdhsa_kernel
	.text
.Lfunc_end0:
	.size	bluestein_single_fwd_len98_dim1_sp_op_CI_CI, .Lfunc_end0-bluestein_single_fwd_len98_dim1_sp_op_CI_CI
                                        ; -- End function
	.section	.AMDGPU.csdata,"",@progbits
; Kernel info:
; codeLenInByte = 5184
; NumSgprs: 20
; NumVgprs: 74
; ScratchSize: 0
; MemoryBound: 0
; FloatMode: 240
; IeeeMode: 1
; LDSByteSize: 14112 bytes/workgroup (compile time only)
; SGPRBlocks: 2
; VGPRBlocks: 18
; NumSGPRsForWavesPerEU: 20
; NumVGPRsForWavesPerEU: 74
; Occupancy: 3
; WaveLimiterHint : 1
; COMPUTE_PGM_RSRC2:SCRATCH_EN: 0
; COMPUTE_PGM_RSRC2:USER_SGPR: 6
; COMPUTE_PGM_RSRC2:TRAP_HANDLER: 0
; COMPUTE_PGM_RSRC2:TGID_X_EN: 1
; COMPUTE_PGM_RSRC2:TGID_Y_EN: 0
; COMPUTE_PGM_RSRC2:TGID_Z_EN: 0
; COMPUTE_PGM_RSRC2:TIDIG_COMP_CNT: 0
	.type	__hip_cuid_6e30ee96d6b2fc4a,@object ; @__hip_cuid_6e30ee96d6b2fc4a
	.section	.bss,"aw",@nobits
	.globl	__hip_cuid_6e30ee96d6b2fc4a
__hip_cuid_6e30ee96d6b2fc4a:
	.byte	0                               ; 0x0
	.size	__hip_cuid_6e30ee96d6b2fc4a, 1

	.ident	"AMD clang version 19.0.0git (https://github.com/RadeonOpenCompute/llvm-project roc-6.4.0 25133 c7fe45cf4b819c5991fe208aaa96edf142730f1d)"
	.section	".note.GNU-stack","",@progbits
	.addrsig
	.addrsig_sym __hip_cuid_6e30ee96d6b2fc4a
	.amdgpu_metadata
---
amdhsa.kernels:
  - .args:
      - .actual_access:  read_only
        .address_space:  global
        .offset:         0
        .size:           8
        .value_kind:     global_buffer
      - .actual_access:  read_only
        .address_space:  global
        .offset:         8
        .size:           8
        .value_kind:     global_buffer
      - .actual_access:  read_only
        .address_space:  global
        .offset:         16
        .size:           8
        .value_kind:     global_buffer
      - .actual_access:  read_only
        .address_space:  global
        .offset:         24
        .size:           8
        .value_kind:     global_buffer
      - .actual_access:  read_only
        .address_space:  global
        .offset:         32
        .size:           8
        .value_kind:     global_buffer
      - .offset:         40
        .size:           8
        .value_kind:     by_value
      - .address_space:  global
        .offset:         48
        .size:           8
        .value_kind:     global_buffer
      - .address_space:  global
        .offset:         56
        .size:           8
        .value_kind:     global_buffer
      - .address_space:  global
        .offset:         64
        .size:           8
        .value_kind:     global_buffer
      - .address_space:  global
        .offset:         72
        .size:           8
        .value_kind:     global_buffer
      - .offset:         80
        .size:           4
        .value_kind:     by_value
      - .address_space:  global
        .offset:         88
        .size:           8
        .value_kind:     global_buffer
      - .address_space:  global
        .offset:         96
        .size:           8
        .value_kind:     global_buffer
    .group_segment_fixed_size: 14112
    .kernarg_segment_align: 8
    .kernarg_segment_size: 104
    .language:       OpenCL C
    .language_version:
      - 2
      - 0
    .max_flat_workgroup_size: 252
    .name:           bluestein_single_fwd_len98_dim1_sp_op_CI_CI
    .private_segment_fixed_size: 0
    .sgpr_count:     20
    .sgpr_spill_count: 0
    .symbol:         bluestein_single_fwd_len98_dim1_sp_op_CI_CI.kd
    .uniform_work_group_size: 1
    .uses_dynamic_stack: false
    .vgpr_count:     74
    .vgpr_spill_count: 0
    .wavefront_size: 64
amdhsa.target:   amdgcn-amd-amdhsa--gfx906
amdhsa.version:
  - 1
  - 2
...

	.end_amdgpu_metadata
